;; amdgpu-corpus repo=zjin-lcf/HeCBench kind=compiled arch=gfx1030 opt=O3
	.amdgcn_target "amdgcn-amd-amdhsa--gfx1030"
	.amdhsa_code_object_version 6
	.text
	.protected	_Z11fasten_mainmmmmPK4AtomS1_PKfS3_S3_S3_S3_S3_PK8FFParamsPf ; -- Begin function _Z11fasten_mainmmmmPK4AtomS1_PKfS3_S3_S3_S3_S3_PK8FFParamsPf
	.globl	_Z11fasten_mainmmmmPK4AtomS1_PKfS3_S3_S3_S3_S3_PK8FFParamsPf
	.p2align	8
	.type	_Z11fasten_mainmmmmPK4AtomS1_PKfS3_S3_S3_S3_S3_PK8FFParamsPf,@function
_Z11fasten_mainmmmmPK4AtomS1_PKfS3_S3_S3_S3_S3_PK8FFParamsPf: ; @_Z11fasten_mainmmmmPK4AtomS1_PKfS3_S3_S3_S3_S3_PK8FFParamsPf
; %bb.0:
	s_clause 0x4
	s_load_dwordx8 s[20:27], s[4:5], 0x0
	s_load_dwordx8 s[36:43], s[4:5], 0x40
	;; [unrolled: 1-line block ×3, first 2 shown]
	s_load_dwordx2 s[28:29], s[4:5], 0x68
	s_load_dword s2, s[4:5], 0x7c
	v_mov_b32_e32 v1, 0
	s_mov_b32 s3, exec_lo
	s_waitcnt lgkmcnt(0)
	v_cmpx_gt_u64_e64 s[20:21], v[0:1]
	s_cbranch_execz .LBB0_3
; %bb.1:
	s_load_dwordx2 s[0:1], s[4:5], 0x60
	s_and_b32 s4, 0xffff, s2
	v_mov_b32_e32 v4, v1
	v_add_nc_u32_e32 v2, s4, v0
	v_lshl_add_u32 v5, v0, 4, 0
	v_mov_b32_e32 v3, v0
	s_mov_b32 s5, 0
	s_lshl_b32 s7, s4, 4
	.p2align	6
.LBB0_2:                                ; =>This Inner Loop Header: Depth=1
	v_lshlrev_b64 v[3:4], 4, v[3:4]
	s_waitcnt lgkmcnt(0)
	v_add_co_u32 v3, vcc_lo, s0, v3
	v_add_co_ci_u32_e64 v4, null, s1, v4, vcc_lo
	global_load_dwordx4 v[6:9], v[3:4], off
	v_ashrrev_i32_e32 v3, 31, v2
	v_cmp_le_u64_e32 vcc_lo, s[20:21], v[2:3]
	v_mov_b32_e32 v4, v3
	v_mov_b32_e32 v3, v2
	v_add_nc_u32_e32 v2, s4, v2
	s_or_b32 s5, vcc_lo, s5
	s_waitcnt vmcnt(0)
	ds_write2_b64 v5, v[6:7], v[8:9] offset1:1
	v_add_nc_u32_e32 v5, s7, v5
	s_andn2_b32 exec_lo, exec_lo, s5
	s_cbranch_execnz .LBB0_2
.LBB0_3:
	s_or_b32 exec_lo, exec_lo, s3
	s_and_b32 s0, 0xffff, s2
	s_add_u32 s1, s22, -1
	v_mad_u64_u32 v[4:5], null, s0, s6, v[0:1]
	s_addc_u32 s2, s23, -1
	v_cmp_gt_u64_e64 s3, s[24:25], 1
	s_mov_b32 s8, 0xb94c1982
	s_mov_b32 s9, 0x37d75334
	s_mov_b64 s[20:21], 0
	v_cmp_gt_u64_e64 s0, s[22:23], v[4:5]
	v_cndmask_b32_e64 v1, s2, v5, s0
	v_cndmask_b32_e64 v0, s1, v4, s0
	s_mov_b32 s1, 0x7fffff
	v_cmp_gt_u64_e64 s2, s[26:27], 1
	v_lshlrev_b64 v[0:1], 2, v[0:1]
	s_and_b32 s2, s2, exec_lo
	v_add_co_u32 v2, vcc_lo, s16, v0
	v_add_co_ci_u32_e64 v3, null, s17, v1, vcc_lo
	v_add_co_u32 v6, vcc_lo, s18, v0
	v_add_co_ci_u32_e64 v7, null, s19, v1, vcc_lo
	global_load_dword v2, v[2:3], off
	v_add_co_u32 v8, vcc_lo, s36, v0
	v_add_co_ci_u32_e64 v9, null, s37, v1, vcc_lo
	global_load_dword v3, v[6:7], off
	global_load_dword v11, v[8:9], off
	v_mov_b32_e32 v7, 0
	v_add_co_u32 v8, vcc_lo, s38, v0
	v_add_co_ci_u32_e64 v9, null, s39, v1, vcc_lo
	v_add_co_u32 v14, vcc_lo, s40, v0
	v_add_co_ci_u32_e64 v15, null, s41, v1, vcc_lo
	;; [unrolled: 2-line block ×3, first 2 shown]
	global_load_dword v8, v[8:9], off
	global_load_dword v9, v[14:15], off
	;; [unrolled: 1-line block ×3, first 2 shown]
	s_cselect_b32 s17, s27, 0
	s_cselect_b32 s16, s26, 1
	s_and_b32 s2, s3, exec_lo
	s_cselect_b32 s19, s25, 0
	s_cselect_b32 s18, s24, 1
	s_add_u32 s12, s12, 8
	s_addc_u32 s13, s13, 0
	s_waitcnt vmcnt(0) lgkmcnt(0)
	s_barrier
	buffer_gl0_inv
	v_and_b32_e32 v12, 0x7fffffff, v2
	v_mul_f32_e64 v14, 0x3f22f983, |v2|
	v_and_or_b32 v13, v12, s1, 0x800000
	v_lshrrev_b32_e32 v17, 23, v12
	v_and_b32_e32 v0, 0x7fffffff, v11
	v_and_b32_e32 v1, 0x7fffffff, v3
	v_rndne_f32_e32 v30, v14
	v_mad_u64_u32 v[18:19], null, 0xfe5163ab, v13, 0
	v_lshrrev_b32_e32 v26, 23, v0
	v_add_nc_u32_e32 v31, 0xffffff88, v17
	v_lshrrev_b32_e32 v14, 23, v1
	v_and_or_b32 v34, v1, s1, 0x800000
	v_fma_f32 v37, 0xbfc90fda, v30, |v2|
	v_add_nc_u32_e32 v39, 0xffffff88, v26
	v_mov_b32_e32 v6, v19
	v_cmp_lt_u32_e32 vcc_lo, 63, v31
	v_add_nc_u32_e32 v32, 0xffffff88, v14
	v_mul_f32_e64 v16, 0x3f22f983, |v11|
	v_cmp_lt_u32_e64 s2, 63, v39
	v_mad_u64_u32 v[19:20], null, 0x3c439041, v13, v[6:7]
	v_and_or_b32 v35, v0, s1, 0x800000
	v_fmac_f32_e32 v37, 0xb3a22168, v30
	v_cndmask_b32_e64 v41, 0, 0xffffffc0, s2
	v_cmp_lt_u32_e64 s1, 63, v32
	v_mul_f32_e64 v15, 0x3f22f983, |v3|
	v_rndne_f32_e32 v36, v16
	v_mov_b32_e32 v6, v20
	v_add_nc_u32_e32 v39, v41, v39
	v_cvt_i32_f32_e32 v38, v30
	v_cndmask_b32_e64 v40, 0, 0xffffffc0, s1
	v_fmac_f32_e32 v37, 0xa7c234c4, v30
	v_mad_u64_u32 v[20:21], null, 0xdb629599, v13, v[6:7]
	v_rndne_f32_e32 v33, v15
	v_fma_f32 v17, 0xbfc90fda, v36, |v11|
	v_cmp_lt_u32_e64 s5, 31, v39
	v_add_nc_u32_e32 v40, v40, v32
	v_cvt_i32_f32_e32 v14, v36
	v_fma_f32 v16, 0xbfc90fda, v33, |v3|
	v_mov_b32_e32 v6, v21
	v_fmac_f32_e32 v17, 0xb3a22168, v36
	v_cmp_lt_u32_e64 s4, 31, v40
	v_cvt_i32_f32_e32 v15, v33
	v_fmac_f32_e32 v16, 0xb3a22168, v33
	v_mad_u64_u32 v[21:22], null, 0xf534ddc0, v13, v[6:7]
	v_fmac_f32_e32 v17, 0xa7c234c4, v36
	v_mad_u64_u32 v[26:27], null, 0xfe5163ab, v35, 0
	v_fmac_f32_e32 v16, 0xa7c234c4, v33
	v_mov_b32_e32 v6, v22
	v_mad_u64_u32 v[22:23], null, 0xfe5163ab, v34, 0
	v_cndmask_b32_e32 v19, v21, v19, vcc_lo
	v_mad_u64_u32 v[24:25], null, 0xfc2757d1, v13, v[6:7]
	v_mov_b32_e32 v6, v25
	v_cndmask_b32_e64 v25, 0, 0xffffffc0, vcc_lo
	v_mad_u64_u32 v[28:29], null, 0x4e441529, v13, v[6:7]
	v_add_nc_u32_e32 v25, v25, v31
	v_cmp_lt_u32_e64 s3, 31, v25
	v_mov_b32_e32 v6, v29
	v_mad_u64_u32 v[29:30], null, 0xa2f9836e, v13, v[6:7]
	v_mov_b32_e32 v6, v23
	v_cndmask_b32_e64 v13, 0, 0xffffffe0, s3
	v_cndmask_b32_e64 v23, 0, 0xffffffe0, s4
	v_mad_u64_u32 v[31:32], null, 0x3c439041, v34, v[6:7]
	v_cndmask_b32_e64 v6, 0, 0xffffffe0, s5
	v_add_nc_u32_e32 v13, v13, v25
	v_add_nc_u32_e32 v25, v23, v40
	v_cndmask_b32_e32 v29, v29, v24, vcc_lo
	v_add_nc_u32_e32 v36, v6, v39
	v_mov_b32_e32 v6, v32
	v_cmp_lt_u32_e64 s6, 31, v13
	v_cndmask_b32_e32 v39, v28, v21, vcc_lo
	v_cndmask_b32_e32 v21, v24, v20, vcc_lo
	v_cmp_lt_u32_e64 s7, 31, v36
	v_mad_u64_u32 v[32:33], null, 0xdb629599, v34, v[6:7]
	v_cndmask_b32_e64 v23, 0, 0xffffffe0, s6
	v_cndmask_b32_e32 v6, v30, v28, vcc_lo
	v_cndmask_b32_e64 v28, v29, v39, s3
	v_cndmask_b32_e64 v30, v39, v21, s3
	;; [unrolled: 1-line block ×3, first 2 shown]
	v_add_nc_u32_e32 v13, v23, v13
	v_cndmask_b32_e64 v23, v6, v29, s3
	v_mov_b32_e32 v6, v33
	v_cndmask_b32_e64 v22, v32, v22, s1
	v_sub_nc_u32_e32 v29, 32, v13
	v_cndmask_b32_e64 v33, v23, v28, s6
	v_mad_u64_u32 v[23:24], null, 0xf534ddc0, v34, v[6:7]
	v_cndmask_b32_e64 v28, v28, v30, s6
	v_cndmask_b32_e32 v6, v20, v18, vcc_lo
	v_cndmask_b32_e64 v30, v30, v21, s6
	v_cmp_lt_u32_e32 vcc_lo, 31, v25
	v_alignbit_b32 v18, v33, v28, v29
	v_cndmask_b32_e64 v39, v19, v6, s3
	v_mov_b32_e32 v6, v24
	v_cmp_eq_u32_e64 s3, 0, v13
	v_alignbit_b32 v24, v28, v30, v29
	v_cndmask_b32_e64 v20, 0, 0xffffffe0, vcc_lo
	v_cndmask_b32_e64 v21, v21, v39, s6
	v_cndmask_b32_e64 v31, v23, v31, s1
	;; [unrolled: 1-line block ×3, first 2 shown]
	v_mad_u64_u32 v[18:19], null, 0xfc2757d1, v34, v[6:7]
	v_cndmask_b32_e64 v6, 0, 0xffffffe0, s7
	v_cndmask_b32_e64 v24, v24, v28, s3
	v_bfe_u32 v40, v13, 29, 1
	v_add_nc_u32_e32 v33, v20, v25
	v_alignbit_b32 v29, v30, v21, v29
	v_add_nc_u32_e32 v36, v6, v36
	v_mov_b32_e32 v6, v19
	v_alignbit_b32 v25, v13, v24, 30
	v_sub_nc_u32_e32 v28, 0, v40
	v_cndmask_b32_e64 v22, v31, v22, s4
	v_sub_nc_u32_e32 v39, 32, v33
	v_mad_u64_u32 v[19:20], null, 0x4e441529, v34, v[6:7]
	v_xor_b32_e32 v41, v25, v28
	v_cndmask_b32_e64 v25, v29, v30, s3
	v_lshrrev_b32_e32 v30, 29, v13
	v_lshrrev_b32_e32 v13, 30, v13
	v_sub_nc_u32_e32 v29, 32, v36
	v_ffbh_u32_e32 v42, v41
	v_mov_b32_e32 v6, v20
	v_alignbit_b32 v24, v24, v25, 30
	v_alignbit_b32 v43, v25, v21, 30
	v_cndmask_b32_e64 v45, v19, v23, s1
	v_min_u32_e32 v42, 32, v42
	v_mad_u64_u32 v[20:21], null, 0xa2f9836e, v34, v[6:7]
	v_mov_b32_e32 v6, v27
	v_lshlrev_b32_e32 v27, 31, v30
	v_xor_b32_e32 v30, v24, v28
	v_sub_nc_u32_e32 v34, 31, v42
	v_add_nc_u32_e32 v13, v40, v13
	v_mad_u64_u32 v[24:25], null, 0x3c439041, v35, v[6:7]
	v_xor_b32_e32 v6, v43, v28
	v_alignbit_b32 v41, v41, v30, v34
	v_or_b32_e32 v43, 0x33000000, v27
	v_or_b32_e32 v44, 0.5, v27
	v_alignbit_b32 v30, v30, v6, v34
	v_mov_b32_e32 v6, v25
	v_cndmask_b32_e64 v25, v18, v32, s1
	v_lshlrev_b32_e32 v32, 23, v42
	v_cndmask_b32_e64 v18, v20, v18, s1
	v_alignbit_b32 v34, v41, v30, 9
	v_mad_u64_u32 v[27:28], null, 0xdb629599, v35, v[6:7]
	v_cndmask_b32_e64 v31, v25, v31, s4
	v_sub_nc_u32_e32 v23, v44, v32
	v_lshrrev_b32_e32 v32, 9, v41
	v_ffbh_u32_e32 v41, v34
	v_cndmask_b32_e64 v25, v45, v25, s4
	v_cndmask_b32_e32 v44, v31, v22, vcc_lo
	v_mov_b32_e32 v6, v28
	v_or_b32_e32 v28, v32, v23
	v_min_u32_e32 v32, 32, v41
	v_cndmask_b32_e64 v20, v18, v45, s4
	v_cndmask_b32_e64 v26, v27, v26, s2
	v_mad_u64_u32 v[22:23], null, 0xf534ddc0, v35, v[6:7]
	v_cndmask_b32_e64 v6, v21, v19, s1
	v_not_b32_e32 v19, v32
	v_cndmask_b32_e32 v21, v25, v31, vcc_lo
	v_mul_f32_e32 v31, 0x3fc90fda, v28
	v_add_lshl_u32 v32, v32, v42, 23
	v_cndmask_b32_e64 v18, v6, v18, s4
	v_mov_b32_e32 v6, v23
	v_alignbit_b32 v30, v34, v30, v19
	v_fma_f32 v23, 0x3fc90fda, v28, -v31
	v_cndmask_b32_e32 v25, v20, v25, vcc_lo
	v_cndmask_b32_e32 v34, v18, v20, vcc_lo
	v_mad_u64_u32 v[18:19], null, 0xfc2757d1, v35, v[6:7]
	v_sub_nc_u32_e32 v20, v43, v32
	v_fmac_f32_e32 v23, 0x33a22168, v28
	v_lshrrev_b32_e32 v28, 9, v30
	v_alignbit_b32 v41, v21, v44, v39
	v_alignbit_b32 v30, v34, v25, v39
	v_cmp_eq_u32_e32 vcc_lo, 0, v33
	v_mov_b32_e32 v6, v19
	v_or_b32_e32 v28, v20, v28
	v_alignbit_b32 v32, v25, v21, v39
	v_cndmask_b32_e64 v24, v22, v24, s2
	v_cndmask_b32_e32 v30, v30, v34, vcc_lo
	v_mad_u64_u32 v[19:20], null, 0x4e441529, v35, v[6:7]
	v_cndmask_b32_e32 v25, v32, v25, vcc_lo
	v_cndmask_b32_e32 v21, v41, v21, vcc_lo
	v_fmac_f32_e32 v23, 0x3fc90fda, v28
	v_lshrrev_b32_e32 v32, 29, v30
	v_bfe_u32 v33, v30, 29, 1
	v_alignbit_b32 v28, v30, v25, 30
	v_mov_b32_e32 v6, v20
	v_alignbit_b32 v25, v25, v21, 30
	v_alignbit_b32 v34, v21, v44, 30
	v_cndmask_b32_e64 v22, v19, v22, s2
	v_add_f32_e32 v23, v31, v23
	v_mad_u64_u32 v[20:21], null, 0xa2f9836e, v35, v[6:7]
	v_lshrrev_b32_e32 v6, 30, v30
	v_cmp_gt_f32_e64 vcc_lo, 0x48000000, |v2|
	v_sub_nc_u32_e32 v30, 0, v33
	v_lshlrev_b32_e32 v31, 31, v32
	v_cmp_class_f32_e64 s1, v2, 0x1f8
	v_add_nc_u32_e32 v6, v33, v6
	v_cndmask_b32_e64 v20, v20, v18, s2
	v_cndmask_b32_e64 v19, v21, v19, s2
	;; [unrolled: 1-line block ×3, first 2 shown]
	v_xor_b32_e32 v21, v28, v30
	v_xor_b32_e32 v25, v25, v30
	v_cndmask_b32_e64 v27, v20, v22, s5
	v_cndmask_b32_e64 v19, v19, v20, s5
	;; [unrolled: 1-line block ×4, first 2 shown]
	v_xor_b32_e32 v22, v34, v30
	v_or_b32_e32 v28, 0x33000000, v31
	v_cndmask_b32_e64 v19, v19, v27, s7
	v_cndmask_b32_e64 v27, v27, v20, s7
	v_or_b32_e32 v30, 0.5, v31
	v_cndmask_b32_e32 v23, v23, v37, vcc_lo
	v_cndmask_b32_e64 v20, v20, v18, s7
	v_cndmask_b32_e32 v13, v13, v38, vcc_lo
	v_alignbit_b32 v31, v19, v27, v29
	v_cmp_eq_u32_e32 vcc_lo, 0, v36
	v_cndmask_b32_e64 v24, v24, v26, s5
	v_alignbit_b32 v32, v27, v20, v29
	v_ffbh_u32_e32 v26, v21
	v_and_b32_e32 v34, 1, v13
	v_cndmask_b32_e32 v19, v31, v19, vcc_lo
	v_cndmask_b32_e64 v18, v18, v24, s7
	v_cndmask_b32_e32 v27, v32, v27, vcc_lo
	v_mul_f32_e32 v31, v23, v23
	v_min_u32_e32 v26, 32, v26
	v_bfe_u32 v32, v19, 29, 1
	v_alignbit_b32 v29, v20, v18, v29
	v_alignbit_b32 v24, v19, v27, 30
	v_fmaak_f32 v35, s8, v31, 0x3c0881c4
	v_fmaak_f32 v37, s9, v31, 0xbab64f3b
	v_sub_nc_u32_e32 v36, 0, v32
	v_cndmask_b32_e32 v20, v29, v20, vcc_lo
	v_sub_nc_u32_e32 v38, 31, v26
	v_fmaak_f32 v35, v31, v35, 0xbe2aaa9d
	v_lshlrev_b32_e32 v39, 23, v26
	v_xor_b32_e32 v24, v24, v36
	v_alignbit_b32 v27, v27, v20, 30
	v_alignbit_b32 v18, v20, v18, 30
	v_fmaak_f32 v37, v31, v37, 0x3d2aabf7
	v_alignbit_b32 v21, v21, v25, v38
	v_ffbh_u32_e32 v29, v24
	v_alignbit_b32 v22, v25, v22, v38
	v_mul_f32_e32 v20, v31, v35
	v_xor_b32_e32 v27, v27, v36
	v_xor_b32_e32 v18, v18, v36
	v_min_u32_e32 v29, 32, v29
	v_sub_nc_u32_e32 v25, v30, v39
	v_fmaak_f32 v30, v31, v37, 0xbf000004
	v_lshrrev_b32_e32 v36, 29, v19
	v_alignbit_b32 v37, v21, v22, 9
	v_sub_nc_u32_e32 v35, 31, v29
	v_lshrrev_b32_e32 v21, 9, v21
	v_fmac_f32_e32 v23, v23, v20
	v_fma_f32 v30, v31, v30, 1.0
	v_ffbh_u32_e32 v20, v37
	v_alignbit_b32 v24, v24, v27, v35
	v_alignbit_b32 v18, v27, v18, v35
	v_lshlrev_b32_e32 v27, 31, v36
	v_or_b32_e32 v21, v21, v25
	v_lshlrev_b32_e32 v36, 23, v29
	v_min_u32_e32 v20, 32, v20
	v_alignbit_b32 v25, v24, v18, 9
	v_or_b32_e32 v35, 0.5, v27
	v_lshrrev_b32_e32 v24, 9, v24
	v_mul_f32_e32 v38, 0x3fc90fda, v21
	v_or_b32_e32 v27, 0x33000000, v27
	v_ffbh_u32_e32 v31, v25
	v_sub_nc_u32_e32 v35, v35, v36
	v_not_b32_e32 v36, v20
	v_add_lshl_u32 v20, v20, v26, 23
	v_fma_f32 v26, 0x3fc90fda, v21, -v38
	v_min_u32_e32 v31, 32, v31
	v_or_b32_e32 v24, v24, v35
	v_alignbit_b32 v22, v37, v22, v36
	v_sub_nc_u32_e32 v20, v28, v20
	v_fmac_f32_e32 v26, 0x33a22168, v21
	v_not_b32_e32 v35, v31
	v_mul_f32_e32 v28, 0x3fc90fda, v24
	v_add_lshl_u32 v29, v31, v29, 23
	v_lshrrev_b32_e32 v22, 9, v22
	v_cmp_eq_u32_e32 vcc_lo, 0, v34
	v_alignbit_b32 v18, v25, v18, v35
	v_fma_f32 v21, 0x3fc90fda, v24, -v28
	v_sub_nc_u32_e32 v25, v27, v29
	v_or_b32_e32 v20, v20, v22
	v_lshlrev_b32_e32 v13, 30, v13
	v_lshrrev_b32_e32 v18, 9, v18
	v_cndmask_b32_e32 v22, v30, v23, vcc_lo
	v_fmac_f32_e32 v21, 0x33a22168, v24
	v_fmac_f32_e32 v26, 0x3fc90fda, v20
	v_and_b32_e32 v13, 0x80000000, v13
	v_or_b32_e32 v18, v25, v18
	v_cndmask_b32_e64 v20, -v23, v30, vcc_lo
	v_xor_b32_e32 v22, v2, v22
	v_cmp_gt_f32_e64 vcc_lo, 0x48000000, |v3|
	v_fmac_f32_e32 v21, 0x3fc90fda, v18
	v_add_f32_e32 v18, v38, v26
	v_xor_b32_e32 v20, v13, v20
	v_xor3_b32 v12, v22, v12, v13
	v_cndmask_b32_e32 v6, v6, v15, vcc_lo
	v_add_f32_e32 v13, v28, v21
	v_cndmask_b32_e32 v16, v18, v16, vcc_lo
	v_cmp_gt_f32_e64 vcc_lo, 0x48000000, |v11|
	v_lshrrev_b32_e32 v18, 30, v19
	v_cndmask_b32_e64 v2, 0x7fc00000, v12, s1
	v_mul_f32_e32 v15, v16, v16
	v_cndmask_b32_e32 v13, v13, v17, vcc_lo
	v_add_nc_u32_e32 v12, v32, v18
	v_and_b32_e32 v18, 1, v6
	v_lshlrev_b32_e32 v6, 30, v6
	v_fmaak_f32 v19, s8, v15, 0x3c0881c4
	v_mul_f32_e32 v17, v13, v13
	v_fmaak_f32 v21, s9, v15, 0xbab64f3b
	v_cndmask_b32_e32 v12, v12, v14, vcc_lo
	v_cmp_eq_u32_e32 vcc_lo, 0, v18
	v_fmaak_f32 v19, v15, v19, 0xbe2aaa9d
	v_fmaak_f32 v22, s8, v17, 0x3c0881c4
	;; [unrolled: 1-line block ×4, first 2 shown]
	v_and_b32_e32 v6, 0x80000000, v6
	v_mul_f32_e32 v19, v15, v19
	v_fmaak_f32 v22, v17, v22, 0xbe2aaa9d
	v_fmaak_f32 v23, v17, v23, 0x3d2aabf7
	;; [unrolled: 1-line block ×3, first 2 shown]
	v_fmac_f32_e32 v16, v16, v19
	v_mul_f32_e32 v14, v17, v22
	v_fmaak_f32 v22, v17, v23, 0xbf000004
	v_fma_f32 v15, v15, v21, 1.0
	v_and_b32_e32 v19, 1, v12
	v_lshlrev_b32_e32 v12, 30, v12
	v_fmac_f32_e32 v13, v13, v14
	v_fma_f32 v14, v17, v22, 1.0
	v_cndmask_b32_e32 v17, v15, v16, vcc_lo
	v_cmp_eq_u32_e64 s2, 0, v19
	v_cndmask_b32_e64 v15, -v16, v15, vcc_lo
	v_and_b32_e32 v12, 0x80000000, v12
	v_cmp_class_f32_e64 vcc_lo, v3, 0x1f8
	v_xor_b32_e32 v16, v3, v17
	v_cndmask_b32_e64 v18, v14, v13, s2
	v_cndmask_b32_e64 v13, -v13, v14, s2
	v_xor_b32_e32 v15, v6, v15
	v_cmp_class_f32_e64 s2, v11, 0x1f8
	v_xor3_b32 v1, v16, v1, v6
	v_xor_b32_e32 v14, v11, v18
	v_xor_b32_e32 v3, v12, v13
	v_cndmask_b32_e32 v16, 0x7fc00000, v15, vcc_lo
	v_cndmask_b32_e32 v6, 0x7fc00000, v1, vcc_lo
	v_xor3_b32 v0, v14, v0, v12
	v_cndmask_b32_e64 v1, 0x7fc00000, v20, s1
	v_cndmask_b32_e64 v3, 0x7fc00000, v3, s2
	v_mul_f32_e32 v11, v2, v16
	v_mul_f32_e32 v18, v2, v6
	v_cndmask_b32_e64 v0, 0x7fc00000, v0, s2
	v_mul_f32_e32 v19, v1, v6
	v_mul_f32_e32 v12, v1, v16
	;; [unrolled: 1-line block ×8, first 2 shown]
	v_fmac_f32_e32 v15, v18, v0
	v_fma_f32 v17, v18, v3, -v17
	v_fmac_f32_e32 v14, v2, v0
	v_fma_f32 v19, v19, v0, -v1
	v_mov_b32_e32 v18, 0
.LBB0_4:                                ; =>This Loop Header: Depth=1
                                        ;     Child Loop BB0_5 Depth 2
	s_lshl_b64 s[2:3], s[20:21], 4
	s_mov_b64 s[22:23], s[16:17]
	s_add_u32 s2, s14, s2
	s_addc_u32 s3, s15, s3
	s_mov_b64 s[24:25], s[12:13]
	global_load_dwordx4 v[22:25], v7, s[2:3]
	s_waitcnt vmcnt(0)
	v_lshlrev_b32_e32 v0, 4, v25
	v_fma_f32 v20, v13, v22, v8
	v_fma_f32 v21, v16, v22, v9
	v_fma_f32 v22, -v6, v22, v10
	v_add_nc_u32_e32 v0, 0, v0
	v_fmac_f32_e32 v20, v17, v23
	v_fmac_f32_e32 v21, v15, v23
	;; [unrolled: 1-line block ×3, first 2 shown]
	ds_read_b128 v[0:3], v0
	v_fmac_f32_e32 v20, v14, v24
	v_fmac_f32_e32 v21, v19, v24
	;; [unrolled: 1-line block ×3, first 2 shown]
	s_waitcnt lgkmcnt(0)
	v_cmp_gt_f32_e64 s1, 0, v2
	v_cmp_lt_f32_e64 s2, 0, v2
	v_cmp_eq_u32_e64 s3, 0x46, v0
	v_cmp_eq_u32_e64 s4, 0x45, v0
	v_cndmask_b32_e64 v0, 1.0, 0x40b00000, s1
	v_cndmask_b32_e64 v23, 0xff7fffff, 1.0, s1
.LBB0_5:                                ;   Parent Loop BB0_4 Depth=1
                                        ; =>  This Inner Loop Header: Depth=2
	global_load_dwordx4 v[24:27], v7, s[24:25] offset:-8
	s_waitcnt vmcnt(0)
	v_sub_f32_e32 v28, v20, v24
	v_sub_f32_e32 v24, v21, v25
	v_lshlrev_b32_e32 v27, 4, v27
	v_sub_f32_e32 v29, v22, v26
	v_mul_f32_e32 v30, v24, v24
	v_add_nc_u32_e32 v25, 0, v27
	v_fmac_f32_e32 v30, v28, v28
	ds_read_b128 v[24:27], v25
	v_fmac_f32_e32 v30, v29, v29
	v_mul_f32_e32 v28, 0x4f800000, v30
	v_cmp_gt_f32_e32 vcc_lo, 0xf800000, v30
	v_cndmask_b32_e32 v28, v30, v28, vcc_lo
	v_sqrt_f32_e32 v29, v28
	s_waitcnt lgkmcnt(0)
	v_cmp_eq_u32_e64 s5, 0x46, v24
	v_cmp_gt_f32_e64 s9, 0, v26
	v_cmp_lt_f32_e64 s7, 0, v26
	v_add_f32_e32 v25, v1, v25
	v_cmp_neq_f32_e64 s8, 0, v26
	s_and_b32 s11, s5, s3
	s_and_b32 s5, s9, s2
	v_cmp_eq_u32_e64 s6, 0x45, v24
	v_cndmask_b32_e64 v26, v26, -v26, s5
	s_and_b32 s5, s7, s1
	v_cndmask_b32_e64 v24, v23, v0, s9
	v_div_scale_f32 v30, null, v25, v25, 1.0
	v_cndmask_b32_e64 v33, v2, -v2, s5
	v_add_nc_u32_e32 v38, -1, v29
	v_div_scale_f32 v34, null, v24, v24, 1.0
	v_rcp_f32_e32 v37, v30
	v_add_nc_u32_e32 v40, 1, v29
	v_add_f32_e32 v26, v26, v33
	v_fma_f32 v33, -v38, v29, v28
	v_rcp_f32_e32 v39, v34
	v_div_scale_f32 v31, s10, 1.0, v25, 1.0
	v_fma_f32 v41, -v40, v29, v28
	v_cmp_ge_f32_e64 s7, 0, v33
	v_div_scale_f32 v35, s5, 1.0, v24, 1.0
	v_fma_f32 v42, -v30, v37, 1.0
	v_cndmask_b32_e64 v32, 2.0, 4.0, s11
	v_cndmask_b32_e64 v29, v29, v38, s7
	v_cmp_lt_f32_e64 s7, 0, v41
	v_fma_f32 v33, -v34, v39, 1.0
	v_fmac_f32_e32 v37, v42, v37
	v_cndmask_b32_e64 v36, 0.5, 0x3e800000, s11
	v_mul_f32_e32 v27, v3, v27
	v_cndmask_b32_e64 v29, v29, v40, s7
	v_fmac_f32_e32 v39, v33, v39
	v_mul_f32_e32 v33, v31, v37
	v_mul_f32_e32 v38, 0x37800000, v29
	;; [unrolled: 1-line block ×3, first 2 shown]
	v_fma_f32 v41, -v30, v33, v31
	v_cndmask_b32_e32 v29, v29, v38, vcc_lo
	v_cmp_class_f32_e64 vcc_lo, v28, 0x260
	v_fmac_f32_e32 v33, v41, v37
	v_fma_f32 v38, -v34, v40, v35
	v_cndmask_b32_e32 v28, v29, v28, vcc_lo
	v_fma_f32 v29, -v30, v33, v31
	s_mov_b32 vcc_lo, s10
	v_fmac_f32_e32 v40, v38, v39
	v_sub_f32_e32 v30, v28, v25
	v_div_fmas_f32 v29, v29, v37, v33
	v_fma_f32 v31, -v34, v40, v35
	v_fma_f32 v33, -v30, v36, 1.0
	v_cmp_gt_f32_e64 s7, 0, v30
	v_cmp_lt_f32_e32 vcc_lo, v30, v32
	v_div_fixup_f32 v25, v29, v25, 1.0
	v_cmp_lt_f32_e64 s9, v30, v24
	v_cndmask_b32_e64 v33, v33, 1.0, s7
	v_cndmask_b32_e64 v32, 0, 1.0, vcc_lo
	s_mov_b32 vcc_lo, s5
	v_cndmask_b32_e64 v34, 0, 0x42980000, s7
	v_div_fmas_f32 v31, v31, v39, v40
	v_fma_f32 v25, -v28, v25, 1.0
	v_mul_f32_e32 v29, v32, v33
	s_and_b32 s5, s8, s9
	v_div_fixup_f32 v24, v31, v24, 1.0
	v_cndmask_b32_e64 v28, 0, 1.0, s5
	v_mul_f32_e32 v27, v27, v29
	s_or_b32 s5, s6, s4
	v_fmac_f32_e32 v18, v25, v34
	v_fma_f32 v24, -v30, v24, 1.0
	v_mul_f32_e32 v26, v26, v28
	v_cndmask_b32_e64 v25, v27, -|v27|, s5
	s_add_u32 s24, s24, 16
	s_addc_u32 s25, s25, 0
	v_cndmask_b32_e64 v24, v24, 1.0, s7
	s_add_u32 s22, s22, -1
	v_fmac_f32_e32 v18, 0x42340000, v25
	s_addc_u32 s23, s23, -1
	s_cmp_lg_u64 s[22:23], 0
	v_fmac_f32_e32 v18, v26, v24
	s_cbranch_scc1 .LBB0_5
; %bb.6:                                ;   in Loop: Header=BB0_4 Depth=1
	s_add_u32 s20, s20, 1
	s_addc_u32 s21, s21, 0
	s_cmp_lg_u64 s[20:21], s[18:19]
	s_cbranch_scc1 .LBB0_4
; %bb.7:
	s_and_saveexec_b32 s1, s0
	s_cbranch_execz .LBB0_9
; %bb.8:
	v_lshlrev_b64 v[0:1], 2, v[4:5]
	v_mul_f32_e32 v2, 0.5, v18
	v_add_co_u32 v0, vcc_lo, s28, v0
	v_add_co_ci_u32_e64 v1, null, s29, v1, vcc_lo
	global_store_dword v[0:1], v2, off
.LBB0_9:
	s_endpgm
	.section	.rodata,"a",@progbits
	.p2align	6, 0x0
	.amdhsa_kernel _Z11fasten_mainmmmmPK4AtomS1_PKfS3_S3_S3_S3_S3_PK8FFParamsPf
		.amdhsa_group_segment_fixed_size 0
		.amdhsa_private_segment_fixed_size 0
		.amdhsa_kernarg_size 368
		.amdhsa_user_sgpr_count 6
		.amdhsa_user_sgpr_private_segment_buffer 1
		.amdhsa_user_sgpr_dispatch_ptr 0
		.amdhsa_user_sgpr_queue_ptr 0
		.amdhsa_user_sgpr_kernarg_segment_ptr 1
		.amdhsa_user_sgpr_dispatch_id 0
		.amdhsa_user_sgpr_flat_scratch_init 0
		.amdhsa_user_sgpr_private_segment_size 0
		.amdhsa_wavefront_size32 1
		.amdhsa_uses_dynamic_stack 0
		.amdhsa_system_sgpr_private_segment_wavefront_offset 0
		.amdhsa_system_sgpr_workgroup_id_x 1
		.amdhsa_system_sgpr_workgroup_id_y 0
		.amdhsa_system_sgpr_workgroup_id_z 0
		.amdhsa_system_sgpr_workgroup_info 0
		.amdhsa_system_vgpr_workitem_id 0
		.amdhsa_next_free_vgpr 46
		.amdhsa_next_free_sgpr 44
		.amdhsa_reserve_vcc 1
		.amdhsa_reserve_flat_scratch 0
		.amdhsa_float_round_mode_32 0
		.amdhsa_float_round_mode_16_64 0
		.amdhsa_float_denorm_mode_32 3
		.amdhsa_float_denorm_mode_16_64 3
		.amdhsa_dx10_clamp 1
		.amdhsa_ieee_mode 1
		.amdhsa_fp16_overflow 0
		.amdhsa_workgroup_processor_mode 1
		.amdhsa_memory_ordered 1
		.amdhsa_forward_progress 1
		.amdhsa_shared_vgpr_count 0
		.amdhsa_exception_fp_ieee_invalid_op 0
		.amdhsa_exception_fp_denorm_src 0
		.amdhsa_exception_fp_ieee_div_zero 0
		.amdhsa_exception_fp_ieee_overflow 0
		.amdhsa_exception_fp_ieee_underflow 0
		.amdhsa_exception_fp_ieee_inexact 0
		.amdhsa_exception_int_div_zero 0
	.end_amdhsa_kernel
	.text
.Lfunc_end0:
	.size	_Z11fasten_mainmmmmPK4AtomS1_PKfS3_S3_S3_S3_S3_PK8FFParamsPf, .Lfunc_end0-_Z11fasten_mainmmmmPK4AtomS1_PKfS3_S3_S3_S3_S3_PK8FFParamsPf
                                        ; -- End function
	.set _Z11fasten_mainmmmmPK4AtomS1_PKfS3_S3_S3_S3_S3_PK8FFParamsPf.num_vgpr, 46
	.set _Z11fasten_mainmmmmPK4AtomS1_PKfS3_S3_S3_S3_S3_PK8FFParamsPf.num_agpr, 0
	.set _Z11fasten_mainmmmmPK4AtomS1_PKfS3_S3_S3_S3_S3_PK8FFParamsPf.numbered_sgpr, 44
	.set _Z11fasten_mainmmmmPK4AtomS1_PKfS3_S3_S3_S3_S3_PK8FFParamsPf.num_named_barrier, 0
	.set _Z11fasten_mainmmmmPK4AtomS1_PKfS3_S3_S3_S3_S3_PK8FFParamsPf.private_seg_size, 0
	.set _Z11fasten_mainmmmmPK4AtomS1_PKfS3_S3_S3_S3_S3_PK8FFParamsPf.uses_vcc, 1
	.set _Z11fasten_mainmmmmPK4AtomS1_PKfS3_S3_S3_S3_S3_PK8FFParamsPf.uses_flat_scratch, 0
	.set _Z11fasten_mainmmmmPK4AtomS1_PKfS3_S3_S3_S3_S3_PK8FFParamsPf.has_dyn_sized_stack, 0
	.set _Z11fasten_mainmmmmPK4AtomS1_PKfS3_S3_S3_S3_S3_PK8FFParamsPf.has_recursion, 0
	.set _Z11fasten_mainmmmmPK4AtomS1_PKfS3_S3_S3_S3_S3_PK8FFParamsPf.has_indirect_call, 0
	.section	.AMDGPU.csdata,"",@progbits
; Kernel info:
; codeLenInByte = 3756
; TotalNumSgprs: 46
; NumVgprs: 46
; ScratchSize: 0
; MemoryBound: 0
; FloatMode: 240
; IeeeMode: 1
; LDSByteSize: 0 bytes/workgroup (compile time only)
; SGPRBlocks: 0
; VGPRBlocks: 5
; NumSGPRsForWavesPerEU: 46
; NumVGPRsForWavesPerEU: 46
; Occupancy: 16
; WaveLimiterHint : 0
; COMPUTE_PGM_RSRC2:SCRATCH_EN: 0
; COMPUTE_PGM_RSRC2:USER_SGPR: 6
; COMPUTE_PGM_RSRC2:TRAP_HANDLER: 0
; COMPUTE_PGM_RSRC2:TGID_X_EN: 1
; COMPUTE_PGM_RSRC2:TGID_Y_EN: 0
; COMPUTE_PGM_RSRC2:TGID_Z_EN: 0
; COMPUTE_PGM_RSRC2:TIDIG_COMP_CNT: 0
	.text
	.p2alignl 6, 3214868480
	.fill 48, 4, 3214868480
	.section	.AMDGPU.gpr_maximums,"",@progbits
	.set amdgpu.max_num_vgpr, 0
	.set amdgpu.max_num_agpr, 0
	.set amdgpu.max_num_sgpr, 0
	.text
	.type	__hip_cuid_8bc00f0197a59b31,@object ; @__hip_cuid_8bc00f0197a59b31
	.section	.bss,"aw",@nobits
	.globl	__hip_cuid_8bc00f0197a59b31
__hip_cuid_8bc00f0197a59b31:
	.byte	0                               ; 0x0
	.size	__hip_cuid_8bc00f0197a59b31, 1

	.ident	"AMD clang version 22.0.0git (https://github.com/RadeonOpenCompute/llvm-project roc-7.2.4 26084 f58b06dce1f9c15707c5f808fd002e18c2accf7e)"
	.section	".note.GNU-stack","",@progbits
	.addrsig
	.addrsig_sym __hip_cuid_8bc00f0197a59b31
	.amdgpu_metadata
---
amdhsa.kernels:
  - .args:
      - .offset:         0
        .size:           8
        .value_kind:     by_value
      - .offset:         8
        .size:           8
        .value_kind:     by_value
      - .offset:         16
        .size:           8
        .value_kind:     by_value
      - .offset:         24
        .size:           8
        .value_kind:     by_value
      - .actual_access:  read_only
        .address_space:  global
        .offset:         32
        .size:           8
        .value_kind:     global_buffer
      - .actual_access:  read_only
        .address_space:  global
        .offset:         40
        .size:           8
        .value_kind:     global_buffer
      - .actual_access:  read_only
        .address_space:  global
        .offset:         48
        .size:           8
        .value_kind:     global_buffer
      - .actual_access:  read_only
        .address_space:  global
        .offset:         56
        .size:           8
        .value_kind:     global_buffer
      - .actual_access:  read_only
        .address_space:  global
        .offset:         64
        .size:           8
        .value_kind:     global_buffer
      - .actual_access:  read_only
        .address_space:  global
        .offset:         72
        .size:           8
        .value_kind:     global_buffer
      - .actual_access:  read_only
        .address_space:  global
        .offset:         80
        .size:           8
        .value_kind:     global_buffer
      - .actual_access:  read_only
        .address_space:  global
        .offset:         88
        .size:           8
        .value_kind:     global_buffer
      - .actual_access:  read_only
        .address_space:  global
        .offset:         96
        .size:           8
        .value_kind:     global_buffer
      - .actual_access:  write_only
        .address_space:  global
        .offset:         104
        .size:           8
        .value_kind:     global_buffer
      - .offset:         112
        .size:           4
        .value_kind:     hidden_block_count_x
      - .offset:         116
        .size:           4
        .value_kind:     hidden_block_count_y
      - .offset:         120
        .size:           4
        .value_kind:     hidden_block_count_z
      - .offset:         124
        .size:           2
        .value_kind:     hidden_group_size_x
      - .offset:         126
        .size:           2
        .value_kind:     hidden_group_size_y
      - .offset:         128
        .size:           2
        .value_kind:     hidden_group_size_z
      - .offset:         130
        .size:           2
        .value_kind:     hidden_remainder_x
      - .offset:         132
        .size:           2
        .value_kind:     hidden_remainder_y
      - .offset:         134
        .size:           2
        .value_kind:     hidden_remainder_z
      - .offset:         152
        .size:           8
        .value_kind:     hidden_global_offset_x
      - .offset:         160
        .size:           8
        .value_kind:     hidden_global_offset_y
      - .offset:         168
        .size:           8
        .value_kind:     hidden_global_offset_z
      - .offset:         176
        .size:           2
        .value_kind:     hidden_grid_dims
      - .offset:         232
        .size:           4
        .value_kind:     hidden_dynamic_lds_size
    .group_segment_fixed_size: 0
    .kernarg_segment_align: 8
    .kernarg_segment_size: 368
    .language:       OpenCL C
    .language_version:
      - 2
      - 0
    .max_flat_workgroup_size: 1024
    .name:           _Z11fasten_mainmmmmPK4AtomS1_PKfS3_S3_S3_S3_S3_PK8FFParamsPf
    .private_segment_fixed_size: 0
    .sgpr_count:     46
    .sgpr_spill_count: 0
    .symbol:         _Z11fasten_mainmmmmPK4AtomS1_PKfS3_S3_S3_S3_S3_PK8FFParamsPf.kd
    .uniform_work_group_size: 1
    .uses_dynamic_stack: false
    .vgpr_count:     46
    .vgpr_spill_count: 0
    .wavefront_size: 32
    .workgroup_processor_mode: 1
amdhsa.target:   amdgcn-amd-amdhsa--gfx1030
amdhsa.version:
  - 1
  - 2
...

	.end_amdgpu_metadata
